;; amdgpu-corpus repo=ROCm/rocFFT kind=compiled arch=gfx950 opt=O3
	.text
	.amdgcn_target "amdgcn-amd-amdhsa--gfx950"
	.amdhsa_code_object_version 6
	.protected	fft_rtc_back_len1750_factors_2_5_5_7_5_wgs_175_tpt_175_halfLds_sp_ip_CI_sbrr_dirReg ; -- Begin function fft_rtc_back_len1750_factors_2_5_5_7_5_wgs_175_tpt_175_halfLds_sp_ip_CI_sbrr_dirReg
	.globl	fft_rtc_back_len1750_factors_2_5_5_7_5_wgs_175_tpt_175_halfLds_sp_ip_CI_sbrr_dirReg
	.p2align	8
	.type	fft_rtc_back_len1750_factors_2_5_5_7_5_wgs_175_tpt_175_halfLds_sp_ip_CI_sbrr_dirReg,@function
fft_rtc_back_len1750_factors_2_5_5_7_5_wgs_175_tpt_175_halfLds_sp_ip_CI_sbrr_dirReg: ; @fft_rtc_back_len1750_factors_2_5_5_7_5_wgs_175_tpt_175_halfLds_sp_ip_CI_sbrr_dirReg
; %bb.0:
	s_load_dwordx2 s[12:13], s[0:1], 0x18
	s_load_dwordx4 s[4:7], s[0:1], 0x0
	s_load_dwordx2 s[10:11], s[0:1], 0x50
	v_mul_u32_u24_e32 v1, 0x177, v0
	v_add_u32_sdwa v6, s2, v1 dst_sel:DWORD dst_unused:UNUSED_PAD src0_sel:DWORD src1_sel:WORD_1
	s_waitcnt lgkmcnt(0)
	s_load_dwordx2 s[8:9], s[12:13], 0x0
	v_mov_b32_e32 v4, 0
	v_cmp_lt_u64_e64 s[2:3], s[6:7], 2
	v_mov_b32_e32 v7, v4
	s_and_b64 vcc, exec, s[2:3]
	v_mov_b64_e32 v[2:3], 0
	s_cbranch_vccnz .LBB0_8
; %bb.1:
	s_load_dwordx2 s[2:3], s[0:1], 0x10
	s_add_u32 s14, s12, 8
	s_addc_u32 s15, s13, 0
	s_mov_b64 s[16:17], 1
	v_mov_b64_e32 v[2:3], 0
	s_waitcnt lgkmcnt(0)
	s_add_u32 s18, s2, 8
	s_addc_u32 s19, s3, 0
.LBB0_2:                                ; =>This Inner Loop Header: Depth=1
	s_load_dwordx2 s[20:21], s[18:19], 0x0
                                        ; implicit-def: $vgpr8_vgpr9
	s_waitcnt lgkmcnt(0)
	v_or_b32_e32 v5, s21, v7
	v_cmp_ne_u64_e32 vcc, 0, v[4:5]
	s_and_saveexec_b64 s[2:3], vcc
	s_xor_b64 s[22:23], exec, s[2:3]
	s_cbranch_execz .LBB0_4
; %bb.3:                                ;   in Loop: Header=BB0_2 Depth=1
	v_cvt_f32_u32_e32 v1, s20
	v_cvt_f32_u32_e32 v5, s21
	s_sub_u32 s2, 0, s20
	s_subb_u32 s3, 0, s21
	v_fmac_f32_e32 v1, 0x4f800000, v5
	v_rcp_f32_e32 v1, v1
	s_nop 0
	v_mul_f32_e32 v1, 0x5f7ffffc, v1
	v_mul_f32_e32 v5, 0x2f800000, v1
	v_trunc_f32_e32 v5, v5
	v_fmac_f32_e32 v1, 0xcf800000, v5
	v_cvt_u32_f32_e32 v5, v5
	v_cvt_u32_f32_e32 v1, v1
	v_mul_lo_u32 v8, s2, v5
	v_mul_hi_u32 v10, s2, v1
	v_mul_lo_u32 v9, s3, v1
	v_add_u32_e32 v10, v10, v8
	v_mul_lo_u32 v12, s2, v1
	v_add_u32_e32 v13, v10, v9
	v_mul_hi_u32 v8, v1, v12
	v_mul_hi_u32 v11, v1, v13
	v_mul_lo_u32 v10, v1, v13
	v_mov_b32_e32 v9, v4
	v_lshl_add_u64 v[8:9], v[8:9], 0, v[10:11]
	v_mul_hi_u32 v11, v5, v12
	v_mul_lo_u32 v12, v5, v12
	v_add_co_u32_e32 v8, vcc, v8, v12
	v_mul_hi_u32 v10, v5, v13
	s_nop 0
	v_addc_co_u32_e32 v8, vcc, v9, v11, vcc
	v_mov_b32_e32 v9, v4
	s_nop 0
	v_addc_co_u32_e32 v11, vcc, 0, v10, vcc
	v_mul_lo_u32 v10, v5, v13
	v_lshl_add_u64 v[8:9], v[8:9], 0, v[10:11]
	v_add_co_u32_e32 v1, vcc, v1, v8
	v_mul_lo_u32 v10, s2, v1
	s_nop 0
	v_addc_co_u32_e32 v5, vcc, v5, v9, vcc
	v_mul_lo_u32 v8, s2, v5
	v_mul_hi_u32 v9, s2, v1
	v_add_u32_e32 v8, v9, v8
	v_mul_lo_u32 v9, s3, v1
	v_add_u32_e32 v12, v8, v9
	v_mul_hi_u32 v14, v5, v10
	v_mul_lo_u32 v15, v5, v10
	v_mul_hi_u32 v9, v1, v12
	v_mul_lo_u32 v8, v1, v12
	v_mul_hi_u32 v10, v1, v10
	v_mov_b32_e32 v11, v4
	v_lshl_add_u64 v[8:9], v[10:11], 0, v[8:9]
	v_add_co_u32_e32 v8, vcc, v8, v15
	v_mul_hi_u32 v13, v5, v12
	s_nop 0
	v_addc_co_u32_e32 v8, vcc, v9, v14, vcc
	v_mul_lo_u32 v10, v5, v12
	s_nop 0
	v_addc_co_u32_e32 v11, vcc, 0, v13, vcc
	v_mov_b32_e32 v9, v4
	v_lshl_add_u64 v[8:9], v[8:9], 0, v[10:11]
	v_add_co_u32_e32 v1, vcc, v1, v8
	v_mul_hi_u32 v10, v6, v1
	s_nop 0
	v_addc_co_u32_e32 v5, vcc, v5, v9, vcc
	v_mad_u64_u32 v[8:9], s[2:3], v6, v5, 0
	v_mov_b32_e32 v11, v4
	v_lshl_add_u64 v[8:9], v[10:11], 0, v[8:9]
	v_mad_u64_u32 v[12:13], s[2:3], v7, v1, 0
	v_add_co_u32_e32 v1, vcc, v8, v12
	v_mad_u64_u32 v[10:11], s[2:3], v7, v5, 0
	s_nop 0
	v_addc_co_u32_e32 v8, vcc, v9, v13, vcc
	v_mov_b32_e32 v9, v4
	s_nop 0
	v_addc_co_u32_e32 v11, vcc, 0, v11, vcc
	v_lshl_add_u64 v[8:9], v[8:9], 0, v[10:11]
	v_mul_lo_u32 v1, s21, v8
	v_mul_lo_u32 v5, s20, v9
	v_mad_u64_u32 v[10:11], s[2:3], s20, v8, 0
	v_add3_u32 v1, v11, v5, v1
	v_sub_u32_e32 v5, v7, v1
	v_mov_b32_e32 v11, s21
	v_sub_co_u32_e32 v14, vcc, v6, v10
	v_lshl_add_u64 v[12:13], v[8:9], 0, 1
	s_nop 0
	v_subb_co_u32_e64 v5, s[2:3], v5, v11, vcc
	v_subrev_co_u32_e64 v10, s[2:3], s20, v14
	v_subb_co_u32_e32 v1, vcc, v7, v1, vcc
	s_nop 0
	v_subbrev_co_u32_e64 v5, s[2:3], 0, v5, s[2:3]
	v_cmp_le_u32_e64 s[2:3], s21, v5
	v_cmp_le_u32_e32 vcc, s21, v1
	s_nop 0
	v_cndmask_b32_e64 v11, 0, -1, s[2:3]
	v_cmp_le_u32_e64 s[2:3], s20, v10
	s_nop 1
	v_cndmask_b32_e64 v10, 0, -1, s[2:3]
	v_cmp_eq_u32_e64 s[2:3], s21, v5
	s_nop 1
	v_cndmask_b32_e64 v5, v11, v10, s[2:3]
	v_lshl_add_u64 v[10:11], v[8:9], 0, 2
	v_cmp_ne_u32_e64 s[2:3], 0, v5
	s_nop 1
	v_cndmask_b32_e64 v5, v13, v11, s[2:3]
	v_cndmask_b32_e64 v11, 0, -1, vcc
	v_cmp_le_u32_e32 vcc, s20, v14
	s_nop 1
	v_cndmask_b32_e64 v13, 0, -1, vcc
	v_cmp_eq_u32_e32 vcc, s21, v1
	s_nop 1
	v_cndmask_b32_e32 v1, v11, v13, vcc
	v_cmp_ne_u32_e32 vcc, 0, v1
	v_cndmask_b32_e64 v1, v12, v10, s[2:3]
	s_nop 0
	v_cndmask_b32_e32 v9, v9, v5, vcc
	v_cndmask_b32_e32 v8, v8, v1, vcc
.LBB0_4:                                ;   in Loop: Header=BB0_2 Depth=1
	s_andn2_saveexec_b64 s[2:3], s[22:23]
	s_cbranch_execz .LBB0_6
; %bb.5:                                ;   in Loop: Header=BB0_2 Depth=1
	v_cvt_f32_u32_e32 v1, s20
	s_sub_i32 s22, 0, s20
	v_rcp_iflag_f32_e32 v1, v1
	s_nop 0
	v_mul_f32_e32 v1, 0x4f7ffffe, v1
	v_cvt_u32_f32_e32 v1, v1
	v_mul_lo_u32 v5, s22, v1
	v_mul_hi_u32 v5, v1, v5
	v_add_u32_e32 v1, v1, v5
	v_mul_hi_u32 v1, v6, v1
	v_mul_lo_u32 v5, v1, s20
	v_sub_u32_e32 v5, v6, v5
	v_add_u32_e32 v8, 1, v1
	v_subrev_u32_e32 v9, s20, v5
	v_cmp_le_u32_e32 vcc, s20, v5
	s_nop 1
	v_cndmask_b32_e32 v5, v5, v9, vcc
	v_cndmask_b32_e32 v1, v1, v8, vcc
	v_add_u32_e32 v8, 1, v1
	v_cmp_le_u32_e32 vcc, s20, v5
	v_mov_b32_e32 v9, v4
	s_nop 0
	v_cndmask_b32_e32 v8, v1, v8, vcc
.LBB0_6:                                ;   in Loop: Header=BB0_2 Depth=1
	s_or_b64 exec, exec, s[2:3]
	v_mad_u64_u32 v[10:11], s[2:3], v8, s20, 0
	s_load_dwordx2 s[2:3], s[14:15], 0x0
	v_mul_lo_u32 v1, v9, s20
	v_mul_lo_u32 v5, v8, s21
	v_add3_u32 v1, v11, v5, v1
	v_sub_co_u32_e32 v5, vcc, v6, v10
	s_add_u32 s16, s16, 1
	s_nop 0
	v_subb_co_u32_e32 v1, vcc, v7, v1, vcc
	s_addc_u32 s17, s17, 0
	s_waitcnt lgkmcnt(0)
	v_mul_lo_u32 v1, s2, v1
	v_mul_lo_u32 v6, s3, v5
	v_mad_u64_u32 v[2:3], s[2:3], s2, v5, v[2:3]
	s_add_u32 s14, s14, 8
	v_add3_u32 v3, v6, v3, v1
	s_addc_u32 s15, s15, 0
	v_mov_b64_e32 v[6:7], s[6:7]
	s_add_u32 s18, s18, 8
	v_cmp_ge_u64_e32 vcc, s[16:17], v[6:7]
	s_addc_u32 s19, s19, 0
	s_cbranch_vccnz .LBB0_9
; %bb.7:                                ;   in Loop: Header=BB0_2 Depth=1
	v_mov_b64_e32 v[6:7], v[8:9]
	s_branch .LBB0_2
.LBB0_8:
	v_mov_b64_e32 v[8:9], v[6:7]
.LBB0_9:
	s_lshl_b64 s[2:3], s[6:7], 3
	s_add_u32 s2, s12, s2
	s_addc_u32 s3, s13, s3
	s_load_dwordx2 s[6:7], s[2:3], 0x0
	s_load_dwordx2 s[12:13], s[0:1], 0x20
	s_mov_b32 s2, 0x1767dcf
                                        ; implicit-def: $vgpr35
                                        ; implicit-def: $vgpr22
                                        ; implicit-def: $vgpr23
	s_waitcnt lgkmcnt(0)
	v_mul_lo_u32 v1, s6, v9
	v_mul_lo_u32 v6, s7, v8
	v_mad_u64_u32 v[4:5], s[0:1], s6, v8, v[2:3]
	v_add3_u32 v5, v6, v5, v1
	v_mul_hi_u32 v1, v0, s2
	v_mul_u32_u24_e32 v1, 0xaf, v1
	v_cmp_gt_u64_e32 vcc, s[12:13], v[8:9]
	v_cmp_le_u64_e64 s[0:1], s[12:13], v[8:9]
	v_sub_u32_e32 v34, v0, v1
                                        ; implicit-def: $sgpr2_sgpr3
	s_and_saveexec_b64 s[6:7], s[0:1]
	s_xor_b64 s[0:1], exec, s[6:7]
; %bb.10:
	v_add_u32_e32 v35, 0xaf, v34
	v_add_u32_e32 v22, 0x15e, v34
	;; [unrolled: 1-line block ×3, first 2 shown]
	s_mov_b64 s[2:3], 0
; %bb.11:
	s_or_saveexec_b64 s[0:1], s[0:1]
	v_mov_b64_e32 v[2:3], s[2:3]
	v_lshl_add_u64 v[0:1], v[4:5], 3, s[10:11]
	v_mov_b64_e32 v[4:5], s[2:3]
	v_mov_b64_e32 v[12:13], s[2:3]
	;; [unrolled: 1-line block ×4, first 2 shown]
                                        ; implicit-def: $vgpr6
                                        ; implicit-def: $vgpr14
                                        ; implicit-def: $vgpr20
                                        ; implicit-def: $vgpr16
                                        ; implicit-def: $vgpr8
	s_xor_b64 exec, exec, s[0:1]
	s_cbranch_execz .LBB0_13
; %bb.12:
	v_mad_u64_u32 v[2:3], s[2:3], s8, v34, 0
	v_mov_b32_e32 v4, v3
	v_mad_u64_u32 v[4:5], s[2:3], s9, v34, v[4:5]
	v_mov_b32_e32 v3, v4
	v_add_u32_e32 v5, 0x36b, v34
	v_lshl_add_u64 v[10:11], v[2:3], 3, v[0:1]
	v_mad_u64_u32 v[2:3], s[2:3], s8, v5, 0
	v_mov_b32_e32 v4, v3
	v_mad_u64_u32 v[4:5], s[2:3], s9, v5, v[4:5]
	v_mov_b32_e32 v3, v4
	v_add_u32_e32 v35, 0xaf, v34
	v_lshl_add_u64 v[12:13], v[2:3], 3, v[0:1]
	v_mad_u64_u32 v[2:3], s[2:3], s8, v35, 0
	v_mov_b32_e32 v4, v3
	v_mad_u64_u32 v[4:5], s[2:3], s9, v35, v[4:5]
	v_mov_b32_e32 v3, v4
	v_add_u32_e32 v5, 0x41a, v34
	v_lshl_add_u64 v[14:15], v[2:3], 3, v[0:1]
	v_mad_u64_u32 v[2:3], s[2:3], s8, v5, 0
	v_mov_b32_e32 v4, v3
	v_mad_u64_u32 v[4:5], s[2:3], s9, v5, v[4:5]
	v_mov_b32_e32 v3, v4
	v_add_u32_e32 v22, 0x15e, v34
	v_lshl_add_u64 v[16:17], v[2:3], 3, v[0:1]
	global_load_dwordx2 v[2:3], v[10:11], off
	global_load_dwordx2 v[6:7], v[12:13], off
	global_load_dwordx2 v[4:5], v[14:15], off
	global_load_dwordx2 v[8:9], v[16:17], off
	v_mad_u64_u32 v[10:11], s[2:3], s8, v22, 0
	v_mov_b32_e32 v12, v11
	v_mad_u64_u32 v[12:13], s[2:3], s9, v22, v[12:13]
	v_mov_b32_e32 v11, v12
	v_add_u32_e32 v13, 0x4c9, v34
	v_lshl_add_u64 v[18:19], v[10:11], 3, v[0:1]
	v_mad_u64_u32 v[10:11], s[2:3], s8, v13, 0
	v_mov_b32_e32 v12, v11
	v_mad_u64_u32 v[12:13], s[2:3], s9, v13, v[12:13]
	v_mov_b32_e32 v11, v12
	v_add_u32_e32 v13, 0x20d, v34
	v_lshl_add_u64 v[20:21], v[10:11], 3, v[0:1]
	;; [unrolled: 6-line block ×4, first 2 shown]
	global_load_dwordx2 v[12:13], v[18:19], off
	global_load_dwordx2 v[16:17], v[20:21], off
	;; [unrolled: 1-line block ×4, first 2 shown]
	v_mad_u64_u32 v[18:19], s[2:3], s8, v23, 0
	v_mov_b32_e32 v20, v19
	v_mad_u64_u32 v[20:21], s[2:3], s9, v23, v[20:21]
	v_mov_b32_e32 v19, v20
	v_add_u32_e32 v21, 0x627, v34
	v_lshl_add_u64 v[24:25], v[18:19], 3, v[0:1]
	v_mad_u64_u32 v[18:19], s[2:3], s8, v21, 0
	v_mov_b32_e32 v20, v19
	v_mad_u64_u32 v[20:21], s[2:3], s9, v21, v[20:21]
	v_mov_b32_e32 v19, v20
	v_lshl_add_u64 v[26:27], v[18:19], 3, v[0:1]
	global_load_dwordx2 v[18:19], v[24:25], off
	global_load_dwordx2 v[20:21], v[26:27], off
.LBB0_13:
	s_or_b64 exec, exec, s[0:1]
	s_waitcnt vmcnt(8)
	v_sub_f32_e32 v27, v3, v7
	s_waitcnt vmcnt(6)
	v_sub_f32_e32 v9, v5, v9
	s_waitcnt vmcnt(4)
	v_sub_f32_e32 v17, v13, v17
	v_sub_f32_e32 v25, v2, v6
	v_fma_f32 v26, v3, 2.0, -v27
	v_sub_f32_e32 v3, v4, v8
	v_fma_f32 v8, v5, 2.0, -v9
	v_sub_f32_e32 v5, v12, v16
	v_fma_f32 v16, v13, 2.0, -v17
	s_waitcnt vmcnt(2)
	v_sub_f32_e32 v13, v10, v14
	v_fma_f32 v24, v2, 2.0, -v25
	v_fma_f32 v2, v4, 2.0, -v3
	;; [unrolled: 1-line block ×4, first 2 shown]
	v_lshl_add_u32 v7, v34, 3, 0
	v_lshl_add_u32 v10, v35, 3, 0
	ds_write_b64 v7, v[24:25]
	ds_write_b64 v10, v[2:3]
	v_lshl_add_u32 v3, v22, 3, 0
	s_waitcnt vmcnt(0)
	v_sub_f32_e32 v29, v18, v20
	ds_write_b64 v3, v[4:5]
	ds_write_b64 v7, v[12:13] offset:4200
	v_lshlrev_b32_e32 v4, 2, v34
	v_sub_f32_e32 v15, v11, v15
	v_sub_f32_e32 v21, v19, v21
	v_fma_f32 v28, v18, 2.0, -v29
	v_lshl_add_u32 v5, v23, 3, 0
	v_sub_u32_e32 v18, v7, v4
	v_lshlrev_b32_e32 v37, 2, v23
	v_fma_f32 v14, v11, 2.0, -v15
	v_fma_f32 v20, v19, 2.0, -v21
	v_lshlrev_b32_e32 v36, 2, v22
	v_sub_u32_e32 v11, v5, v37
	v_add_u32_e32 v19, 0xd00, v18
	v_add_u32_e32 v40, 0x1200, v18
	v_lshlrev_b32_e32 v2, 2, v35
	v_and_b32_e32 v48, 1, v34
	ds_write_b64 v5, v[28:29]
	s_waitcnt lgkmcnt(0)
	s_barrier
	v_sub_u32_e32 v6, v3, v36
	ds_read2_b32 v[32:33], v19 offset0:43 offset1:218
	ds_read2_b32 v[38:39], v40 offset0:73 offset1:248
	v_sub_u32_e32 v41, v10, v2
	ds_read_b32 v42, v11
	ds_read_b32 v43, v41
	;; [unrolled: 1-line block ×3, first 2 shown]
	ds_read_b32 v45, v18 offset:2100
	ds_read_b32 v46, v6
	ds_read_b32 v47, v18 offset:6300
	s_waitcnt lgkmcnt(0)
	s_barrier
	ds_write_b64 v7, v[26:27]
	ds_write_b64 v10, v[8:9]
	;; [unrolled: 1-line block ×3, first 2 shown]
	ds_write_b64 v7, v[14:15] offset:4200
	ds_write_b64 v5, v[20:21]
	v_lshlrev_b32_e32 v8, 5, v48
	s_waitcnt lgkmcnt(0)
	s_barrier
	global_load_dwordx4 v[12:15], v8, s[4:5]
	global_load_dwordx4 v[20:23], v8, s[4:5] offset:16
	v_and_b32_e32 v49, 1, v35
	v_lshlrev_b32_e32 v8, 5, v49
	global_load_dwordx4 v[24:27], v8, s[4:5]
	global_load_dwordx4 v[28:31], v8, s[4:5] offset:16
	ds_read2_b32 v[8:9], v19 offset0:43 offset1:218
	ds_read2_b32 v[16:17], v40 offset0:73 offset1:248
	ds_read_b32 v50, v6
	ds_read_b32 v51, v11
	;; [unrolled: 1-line block ×4, first 2 shown]
	ds_read_b32 v54, v18 offset:2100
	ds_read_b32 v55, v18 offset:6300
	s_movk_i32 s0, 0xcd
	s_waitcnt lgkmcnt(0)
	s_barrier
	s_mov_b32 s2, 0x3e9e377a
	s_mov_b32 s3, 0x3f167918
	;; [unrolled: 1-line block ×4, first 2 shown]
	v_sub_u32_e32 v59, 0, v4
	v_sub_u32_e32 v60, 0, v2
	s_waitcnt vmcnt(3)
	v_mul_f32_e32 v56, v50, v13
	v_mul_f32_e32 v13, v46, v13
	v_mul_f32_e32 v57, v51, v15
	v_mul_f32_e32 v15, v42, v15
	v_fmac_f32_e32 v56, v46, v12
	v_fma_f32 v12, v50, v12, -v13
	v_fmac_f32_e32 v57, v42, v14
	v_fma_f32 v13, v51, v14, -v15
	s_waitcnt vmcnt(2)
	v_mul_f32_e32 v14, v9, v21
	v_mul_f32_e32 v15, v33, v21
	v_fmac_f32_e32 v14, v33, v20
	v_fma_f32 v9, v9, v20, -v15
	v_mul_f32_e32 v20, v39, v23
	v_mul_f32_e32 v15, v17, v23
	v_fma_f32 v17, v17, v22, -v20
	s_waitcnt vmcnt(1)
	v_mul_f32_e32 v20, v54, v25
	v_mul_f32_e32 v21, v45, v25
	;; [unrolled: 1-line block ×3, first 2 shown]
	v_fmac_f32_e32 v15, v39, v22
	v_fmac_f32_e32 v20, v45, v24
	v_fma_f32 v21, v54, v24, -v21
	v_mul_f32_e32 v22, v8, v27
	v_fma_f32 v8, v8, v26, -v23
	s_waitcnt vmcnt(0)
	v_mul_f32_e32 v23, v16, v29
	v_mul_f32_e32 v24, v38, v29
	v_add_f32_e32 v27, v57, v14
	v_fmac_f32_e32 v23, v38, v28
	v_fma_f32 v16, v16, v28, -v24
	v_mul_f32_e32 v24, v55, v31
	v_mul_f32_e32 v25, v47, v31
	v_fma_f32 v27, -0.5, v27, v44
	v_sub_f32_e32 v28, v12, v17
	v_fmac_f32_e32 v22, v32, v26
	v_fmac_f32_e32 v24, v47, v30
	v_fma_f32 v25, v55, v30, -v25
	v_fmamk_f32 v29, v28, 0xbf737871, v27
	v_sub_f32_e32 v30, v13, v9
	v_sub_f32_e32 v31, v56, v57
	;; [unrolled: 1-line block ×3, first 2 shown]
	v_fmac_f32_e32 v27, 0x3f737871, v28
	v_fmac_f32_e32 v29, 0xbf167918, v30
	v_add_f32_e32 v31, v31, v32
	v_fmac_f32_e32 v27, 0x3f167918, v30
	v_add_f32_e32 v26, v44, v56
	v_fmac_f32_e32 v29, 0x3e9e377a, v31
	v_fmac_f32_e32 v27, 0x3e9e377a, v31
	v_add_f32_e32 v31, v56, v15
	v_add_f32_e32 v26, v26, v57
	v_fmac_f32_e32 v44, -0.5, v31
	v_add_f32_e32 v26, v26, v14
	v_fmamk_f32 v31, v30, 0x3f737871, v44
	v_sub_f32_e32 v32, v57, v56
	v_sub_f32_e32 v33, v14, v15
	v_fmac_f32_e32 v44, 0xbf737871, v30
	v_add_f32_e32 v30, v13, v9
	v_add_f32_e32 v26, v26, v15
	v_fmac_f32_e32 v31, 0xbf167918, v28
	v_add_f32_e32 v32, v32, v33
	v_fmac_f32_e32 v44, 0x3f167918, v28
	v_fma_f32 v30, -0.5, v30, v53
	v_sub_f32_e32 v15, v56, v15
	v_fmac_f32_e32 v31, 0x3e9e377a, v32
	v_fmac_f32_e32 v44, 0x3e9e377a, v32
	v_add_f32_e32 v28, v53, v12
	v_fmamk_f32 v32, v15, 0x3f737871, v30
	v_sub_f32_e32 v14, v57, v14
	v_sub_f32_e32 v33, v12, v13
	;; [unrolled: 1-line block ×3, first 2 shown]
	v_fmac_f32_e32 v30, 0xbf737871, v15
	v_add_f32_e32 v28, v28, v13
	v_fmac_f32_e32 v32, 0x3f167918, v14
	v_add_f32_e32 v33, v33, v38
	;; [unrolled: 2-line block ×3, first 2 shown]
	v_fmac_f32_e32 v32, 0x3e9e377a, v33
	v_fmac_f32_e32 v30, 0x3e9e377a, v33
	v_add_f32_e32 v33, v12, v17
	v_sub_f32_e32 v12, v13, v12
	v_sub_f32_e32 v9, v9, v17
	v_fmac_f32_e32 v53, -0.5, v33
	v_add_f32_e32 v9, v12, v9
	v_add_f32_e32 v12, v22, v23
	v_fmamk_f32 v33, v14, 0xbf737871, v53
	v_fmac_f32_e32 v53, 0x3f737871, v14
	v_fma_f32 v12, -0.5, v12, v43
	v_sub_f32_e32 v13, v21, v25
	v_add_f32_e32 v28, v28, v17
	v_fmac_f32_e32 v33, 0x3f167918, v15
	v_fmac_f32_e32 v53, 0xbf167918, v15
	v_fmamk_f32 v14, v13, 0xbf737871, v12
	v_sub_f32_e32 v15, v8, v16
	v_sub_f32_e32 v17, v20, v22
	;; [unrolled: 1-line block ×3, first 2 shown]
	v_fmac_f32_e32 v12, 0x3f737871, v13
	v_fmac_f32_e32 v14, 0xbf167918, v15
	v_add_f32_e32 v17, v17, v38
	v_fmac_f32_e32 v12, 0x3f167918, v15
	v_fmac_f32_e32 v14, 0x3e9e377a, v17
	;; [unrolled: 1-line block ×3, first 2 shown]
	v_add_f32_e32 v17, v20, v24
	v_fmac_f32_e32 v33, 0x3e9e377a, v9
	v_fmac_f32_e32 v53, 0x3e9e377a, v9
	v_add_f32_e32 v9, v43, v20
	v_fmac_f32_e32 v43, -0.5, v17
	v_add_f32_e32 v9, v9, v22
	v_fmamk_f32 v17, v15, 0x3f737871, v43
	v_sub_f32_e32 v38, v22, v20
	v_sub_f32_e32 v39, v23, v24
	v_fmac_f32_e32 v43, 0xbf737871, v15
	v_add_f32_e32 v15, v8, v16
	v_add_f32_e32 v9, v9, v23
	v_fmac_f32_e32 v17, 0xbf167918, v13
	v_add_f32_e32 v38, v38, v39
	v_fmac_f32_e32 v43, 0x3f167918, v13
	v_fma_f32 v15, -0.5, v15, v52
	v_sub_f32_e32 v20, v20, v24
	v_add_f32_e32 v9, v9, v24
	v_fmac_f32_e32 v17, 0x3e9e377a, v38
	v_fmac_f32_e32 v43, 0x3e9e377a, v38
	v_fmamk_f32 v24, v20, 0x3f737871, v15
	v_sub_f32_e32 v22, v22, v23
	v_sub_f32_e32 v23, v21, v8
	;; [unrolled: 1-line block ×3, first 2 shown]
	v_fmac_f32_e32 v15, 0xbf737871, v20
	v_fmac_f32_e32 v24, 0x3f167918, v22
	v_add_f32_e32 v23, v23, v38
	v_fmac_f32_e32 v15, 0xbf167918, v22
	v_add_f32_e32 v13, v52, v21
	v_fmac_f32_e32 v24, 0x3e9e377a, v23
	v_fmac_f32_e32 v15, 0x3e9e377a, v23
	v_add_f32_e32 v23, v21, v25
	v_add_f32_e32 v13, v13, v8
	v_fmac_f32_e32 v52, -0.5, v23
	v_add_f32_e32 v13, v13, v16
	v_fmamk_f32 v23, v22, 0xbf737871, v52
	v_sub_f32_e32 v8, v8, v21
	v_sub_f32_e32 v16, v16, v25
	v_fmac_f32_e32 v52, 0x3f737871, v22
	v_fmac_f32_e32 v23, 0x3f167918, v20
	v_add_f32_e32 v8, v8, v16
	v_fmac_f32_e32 v52, 0xbf167918, v20
	v_fmac_f32_e32 v23, 0x3e9e377a, v8
	;; [unrolled: 1-line block ×3, first 2 shown]
	v_lshrrev_b32_e32 v8, 1, v34
	v_mul_u32_u24_e32 v8, 10, v8
	v_or_b32_e32 v8, v8, v48
	v_lshl_add_u32 v20, v8, 2, 0
	v_lshrrev_b32_e32 v8, 1, v35
	v_mul_lo_u32 v8, v8, 10
	v_or_b32_e32 v8, v8, v49
	v_lshl_add_u32 v21, v8, 2, 0
	ds_write2_b32 v20, v26, v29 offset1:2
	ds_write2_b32 v20, v31, v44 offset0:4 offset1:6
	ds_write_b32 v20, v27 offset:32
	ds_write2_b32 v21, v9, v14 offset1:2
	ds_write2_b32 v21, v17, v43 offset0:4 offset1:6
	ds_write_b32 v21, v12 offset:32
	v_mul_lo_u16_sdwa v12, v34, s0 dst_sel:DWORD dst_unused:UNUSED_PAD src0_sel:BYTE_0 src1_sel:DWORD
	v_add_f32_e32 v13, v13, v25
	s_waitcnt lgkmcnt(0)
	s_barrier
	ds_read2_b32 v[8:9], v19 offset0:43 offset1:218
	ds_read2_b32 v[16:17], v40 offset0:73 offset1:248
	ds_read_b32 v25, v11
	ds_read_b32 v54, v41
	;; [unrolled: 1-line block ×3, first 2 shown]
	ds_read_b32 v56, v18 offset:2100
	ds_read_b32 v31, v6
	ds_read_b32 v57, v18 offset:6300
	s_waitcnt lgkmcnt(0)
	s_barrier
	ds_write2_b32 v20, v28, v32 offset1:2
	ds_write2_b32 v20, v33, v53 offset0:4 offset1:6
	ds_write_b32 v20, v30 offset:32
	ds_write2_b32 v21, v13, v24 offset1:2
	ds_write2_b32 v21, v23, v52 offset0:4 offset1:6
	ds_write_b32 v21, v15 offset:32
	v_lshrrev_b16_e32 v52, 11, v12
	v_mul_lo_u16_e32 v12, 10, v52
	v_sub_u16_e32 v24, v34, v12
	v_mov_b32_e32 v12, 5
	v_lshlrev_b32_sdwa v26, v12, v24 dst_sel:DWORD dst_unused:UNUSED_PAD src0_sel:DWORD src1_sel:BYTE_0
	s_waitcnt lgkmcnt(0)
	s_barrier
	global_load_dwordx4 v[12:15], v26, s[4:5] offset:64
	global_load_dwordx4 v[20:23], v26, s[4:5] offset:80
	s_mov_b32 s0, 0xcccd
	v_mul_u32_u24_sdwa v26, v35, s0 dst_sel:DWORD dst_unused:UNUSED_PAD src0_sel:WORD_0 src1_sel:DWORD
	v_lshrrev_b32_e32 v53, 19, v26
	v_mul_lo_u16_e32 v26, 10, v53
	v_sub_u16_e32 v58, v35, v26
	v_lshlrev_b32_e32 v30, 5, v58
	global_load_dwordx4 v[46:49], v30, s[4:5] offset:80
	global_load_dwordx4 v[26:29], v30, s[4:5] offset:64
	ds_read2_b32 v[38:39], v19 offset0:43 offset1:218
	ds_read2_b32 v[50:51], v40 offset0:73 offset1:248
	ds_read_b32 v19, v6
	ds_read_b32 v11, v11
	;; [unrolled: 1-line block ×4, first 2 shown]
	ds_read_b32 v40, v18 offset:2100
	ds_read_b32 v61, v18 offset:6300
	v_mov_b32_e32 v32, 2
	v_lshlrev_b32_sdwa v62, v32, v24 dst_sel:DWORD dst_unused:UNUSED_PAD src0_sel:DWORD src1_sel:BYTE_0
	s_waitcnt lgkmcnt(0)
	s_barrier
	s_movk_i32 s0, 0x4b
	v_cmp_gt_u32_e64 s[0:1], s0, v34
	s_waitcnt vmcnt(3)
	v_mul_f32_e32 v42, v19, v13
	s_waitcnt vmcnt(2)
	v_mul_f32_e32 v44, v39, v21
	v_mul_f32_e32 v13, v31, v13
	;; [unrolled: 1-line block ×3, first 2 shown]
	v_fmac_f32_e32 v44, v9, v20
	v_mul_f32_e32 v9, v9, v21
	v_fmac_f32_e32 v42, v31, v12
	v_fma_f32 v31, v19, v12, -v13
	v_fmac_f32_e32 v43, v25, v14
	v_mul_f32_e32 v12, v25, v15
	v_fma_f32 v33, v39, v20, -v9
	v_mul_f32_e32 v9, v17, v23
	v_fma_f32 v32, v11, v14, -v12
	;; [unrolled: 2-line block ×3, first 2 shown]
	v_add_f32_e32 v11, v43, v44
	v_fmac_f32_e32 v45, v17, v22
	v_fma_f32 v22, -0.5, v11, v55
	v_sub_f32_e32 v11, v31, v41
	v_fmamk_f32 v23, v11, 0xbf737871, v22
	v_sub_f32_e32 v12, v32, v33
	v_sub_f32_e32 v13, v42, v43
	;; [unrolled: 1-line block ×3, first 2 shown]
	v_fmac_f32_e32 v22, 0x3f737871, v11
	v_fmac_f32_e32 v23, 0xbf167918, v12
	v_add_f32_e32 v13, v13, v14
	v_fmac_f32_e32 v22, 0x3f167918, v12
	v_fmac_f32_e32 v23, 0x3e9e377a, v13
	;; [unrolled: 1-line block ×3, first 2 shown]
	v_add_f32_e32 v13, v42, v45
	v_add_f32_e32 v9, v55, v42
	v_fmac_f32_e32 v55, -0.5, v13
	v_lshlrev_b32_e32 v19, 2, v58
	v_fmamk_f32 v58, v12, 0x3f737871, v55
	v_sub_f32_e32 v13, v43, v42
	v_sub_f32_e32 v14, v44, v45
	v_fmac_f32_e32 v55, 0xbf737871, v12
	v_add_f32_e32 v9, v9, v43
	v_add_f32_e32 v14, v13, v14
	;; [unrolled: 1-line block ×3, first 2 shown]
	v_fmac_f32_e32 v58, 0xbf167918, v11
	v_fmac_f32_e32 v55, 0x3f167918, v11
	s_waitcnt vmcnt(0)
	v_mov_b32_e32 v15, v26
	v_mov_b32_e32 v39, v40
	;; [unrolled: 1-line block ×3, first 2 shown]
	v_add_f32_e32 v63, v9, v45
	v_fmac_f32_e32 v58, 0x3e9e377a, v14
	v_fmac_f32_e32 v55, 0x3e9e377a, v14
	v_mov_b32_e32 v9, v56
	v_mov_b32_e32 v14, v28
	v_pk_mul_f32 v[20:21], v[38:39], v[26:27]
	v_mov_b32_e32 v17, v61
	v_pk_fma_f32 v[24:25], v[8:9], v[14:15], v[20:21]
	v_pk_mul_f32 v[8:9], v[8:9], v[26:27]
	v_mov_b32_e32 v12, v47
	v_pk_fma_f32 v[14:15], v[38:39], v[14:15], v[8:9] neg_lo:[0,0,1] neg_hi:[0,0,1]
	v_mov_b32_e32 v8, v46
	v_mov_b32_e32 v9, v49
	;; [unrolled: 1-line block ×4, first 2 shown]
	v_pk_mul_f32 v[8:9], v[16:17], v[8:9]
	v_mov_b32_e32 v17, v57
	v_pk_fma_f32 v[26:27], v[50:51], v[12:13], v[8:9]
	v_mov_b32_e32 v9, v48
	v_mov_b32_e32 v48, v47
	;; [unrolled: 1-line block ×4, first 2 shown]
	v_pk_mul_f32 v[12:13], v[16:17], v[48:49]
	v_mov_b32_e32 v16, v24
	v_pk_fma_f32 v[28:29], v[50:51], v[8:9], v[12:13] neg_lo:[0,0,1] neg_hi:[0,0,1]
	v_add_f32_e32 v8, v54, v25
	v_add_f32_e32 v8, v8, v24
	;; [unrolled: 1-line block ×3, first 2 shown]
	v_mov_b32_e32 v12, v25
	v_mov_b32_e32 v13, v27
	v_mov_b32_e32 v17, v26
	v_add_f32_e32 v38, v8, v27
	v_pk_add_f32 v[8:9], v[24:25], v[26:27]
	v_pk_add_f32 v[20:21], v[12:13], v[16:17] neg_lo:[0,1] neg_hi:[0,1]
	v_fma_f32 v11, -0.5, v8, v54
	v_mov_b32_e32 v8, v21
	v_pk_add_f32 v[20:21], v[20:21], v[8:9]
	v_fmac_f32_e32 v54, -0.5, v9
	v_pk_add_f32 v[8:9], v[14:15], v[28:29] neg_lo:[0,1] neg_hi:[0,1]
	v_pk_add_f32 v[12:13], v[16:17], v[12:13] neg_lo:[0,1] neg_hi:[0,1]
	v_mov_b32_e32 v21, v8
	v_fmamk_f32 v39, v9, 0xbf737871, v11
	v_pk_mul_f32 v[20:21], v[20:21], s[2:3]
	v_fmac_f32_e32 v11, 0x3f737871, v9
	v_sub_f32_e32 v39, v39, v21
	v_add_f32_e32 v11, v21, v11
	v_pk_mul_f32 v[8:9], v[8:9], s[6:7]
	v_add_f32_e32 v39, v20, v39
	v_add_f32_e32 v11, v20, v11
	;; [unrolled: 1-line block ×4, first 2 shown]
	v_sub_f32_e32 v8, v54, v8
	v_sub_f32_e32 v20, v20, v9
	v_mul_f32_e32 v12, 0x3e9e377a, v12
	v_add_f32_e32 v21, v9, v8
	v_pk_add_f32 v[8:9], v[12:13], v[20:21] op_sel_hi:[0,1]
	v_mul_u32_u24_e32 v12, 0xc8, v52
	v_add3_u32 v46, 0, v12, v62
	v_mul_u32_u24_e32 v12, 0xc8, v53
	v_add3_u32 v47, 0, v12, v19
	v_add_u32_e32 v16, 0x7c0, v18
	v_add_u32_e32 v19, 0xfa0, v18
	ds_write2_b32 v46, v63, v23 offset1:10
	ds_write2_b32 v46, v58, v55 offset0:20 offset1:30
	ds_write_b32 v46, v22 offset:160
	ds_write2_b32 v47, v38, v39 offset1:10
	ds_write2_b32 v47, v8, v9 offset0:20 offset1:30
	ds_write_b32 v47, v11 offset:160
	s_waitcnt lgkmcnt(0)
	s_barrier
	ds_read2_b32 v[12:13], v18 offset1:250
	ds_read2_b32 v[16:17], v16 offset0:4 offset1:254
	ds_read2_b32 v[20:21], v19 offset1:250
	ds_read_b32 v40, v18 offset:6000
	v_add_u32_e32 v39, v10, v60
	v_add_u32_e32 v38, v7, v59
                                        ; implicit-def: $vgpr23
                                        ; implicit-def: $vgpr19
	s_and_saveexec_b64 s[10:11], s[0:1]
	s_cbranch_execz .LBB0_15
; %bb.14:
	v_add_u32_e32 v7, 0x6a0, v38
	ds_read2_b32 v[10:11], v7 offset0:1 offset1:251
	v_add_u32_e32 v7, 0xe60, v38
	ds_read2_b32 v[22:23], v7 offset0:5 offset1:255
	v_add_u32_e32 v7, 0x1640, v38
	ds_read_b32 v8, v39
	ds_read2_b32 v[18:19], v7 offset0:1 offset1:251
	s_waitcnt lgkmcnt(3)
	v_mov_b32_e32 v9, v10
.LBB0_15:
	s_or_b64 exec, exec, s[10:11]
	v_add_f32_e32 v7, v30, v31
	v_add_f32_e32 v7, v7, v32
	;; [unrolled: 1-line block ×5, first 2 shown]
	v_fma_f32 v48, -0.5, v7, v30
	v_sub_f32_e32 v7, v42, v45
	v_fmamk_f32 v42, v7, 0x3f737871, v48
	v_sub_f32_e32 v43, v43, v44
	v_sub_f32_e32 v44, v31, v32
	;; [unrolled: 1-line block ×3, first 2 shown]
	v_fmac_f32_e32 v48, 0xbf737871, v7
	v_fmac_f32_e32 v42, 0x3f167918, v43
	v_add_f32_e32 v44, v44, v45
	v_fmac_f32_e32 v48, 0xbf167918, v43
	v_fmac_f32_e32 v42, 0x3e9e377a, v44
	;; [unrolled: 1-line block ×3, first 2 shown]
	v_add_f32_e32 v44, v31, v41
	v_fmac_f32_e32 v30, -0.5, v44
	v_fmamk_f32 v44, v43, 0xbf737871, v30
	v_fmac_f32_e32 v30, 0x3f737871, v43
	v_fmac_f32_e32 v44, 0x3f167918, v7
	;; [unrolled: 1-line block ×3, first 2 shown]
	v_add_f32_e32 v7, v6, v15
	v_sub_f32_e32 v31, v32, v31
	v_sub_f32_e32 v32, v33, v41
	v_add_f32_e32 v7, v7, v14
	v_add_f32_e32 v31, v31, v32
	;; [unrolled: 1-line block ×3, first 2 shown]
	v_pk_add_f32 v[24:25], v[24:25], v[26:27] neg_lo:[0,1] neg_hi:[0,1]
	v_pk_add_f32 v[26:27], v[14:15], v[28:29]
	v_fmac_f32_e32 v44, 0x3e9e377a, v31
	v_fmac_f32_e32 v30, 0x3e9e377a, v31
	v_add_f32_e32 v31, v7, v29
	v_pk_fma_f32 v[6:7], -0.5, v[26:27], v[6:7] op_sel_hi:[0,1,0]
	s_mov_b32 s10, s3
	v_pk_fma_f32 v[26:27], v[24:25], s[6:7], v[6:7] op_sel:[0,0,1] op_sel_hi:[1,0,0]
	v_pk_mul_f32 v[32:33], v[24:25], s[10:11] op_sel_hi:[1,0]
	v_pk_fma_f32 v[6:7], v[24:25], s[6:7], v[6:7] op_sel:[0,0,1] op_sel_hi:[1,0,0] neg_lo:[1,0,0] neg_hi:[1,0,0]
	v_pk_add_f32 v[14:15], v[14:15], v[14:15] op_sel:[0,1] op_sel_hi:[1,0] neg_lo:[0,1] neg_hi:[0,1]
	v_pk_add_f32 v[28:29], v[28:29], v[28:29] op_sel:[0,1] op_sel_hi:[1,0] neg_lo:[0,1] neg_hi:[0,1]
	v_pk_add_f32 v[24:25], v[6:7], v[32:33] op_sel:[0,1] op_sel_hi:[1,0]
	v_pk_add_f32 v[6:7], v[6:7], v[32:33] op_sel:[0,1] op_sel_hi:[1,0] neg_lo:[0,1] neg_hi:[0,1]
	v_pk_add_f32 v[14:15], v[14:15], v[28:29]
	v_mov_b32_e32 v25, v7
	v_pk_mul_f32 v[28:29], v[14:15], s[2:3] op_sel_hi:[1,0]
	v_add_f32_e32 v27, v32, v27
	v_pk_fma_f32 v[6:7], v[14:15], s[2:3], v[24:25] op_sel_hi:[1,0,1]
	v_sub_f32_e32 v14, v26, v33
	v_add_f32_e32 v27, v29, v27
	v_add_f32_e32 v24, v28, v14
	s_waitcnt lgkmcnt(0)
	s_barrier
	ds_write2_b32 v46, v10, v42 offset1:10
	ds_write2_b32 v46, v44, v30 offset0:20 offset1:30
	ds_write_b32 v46, v48 offset:160
	ds_write2_b32 v47, v31, v27 offset1:10
	ds_write2_b32 v47, v6, v24 offset0:20 offset1:30
	ds_write_b32 v47, v7 offset:160
	v_add_u32_e32 v10, 0x7c0, v38
	s_waitcnt lgkmcnt(0)
	s_barrier
	ds_read2_b32 v[28:29], v10 offset0:4 offset1:254
	v_add_u32_e32 v10, 0xfa0, v38
	ds_read2_b32 v[14:15], v38 offset1:250
	ds_read2_b32 v[30:31], v10 offset1:250
	ds_read_b32 v42, v38 offset:6000
                                        ; implicit-def: $vgpr33
                                        ; implicit-def: $vgpr27
	s_and_saveexec_b64 s[2:3], s[0:1]
	s_cbranch_execz .LBB0_17
; %bb.16:
	v_add_u32_e32 v7, 0x6a0, v38
	ds_read2_b32 v[24:25], v7 offset0:1 offset1:251
	v_add_u32_e32 v7, 0xe60, v38
	ds_read2_b32 v[32:33], v7 offset0:5 offset1:255
	v_add_u32_e32 v7, 0x1640, v38
	ds_read_b32 v6, v39
	ds_read2_b32 v[26:27], v7 offset0:1 offset1:251
	s_waitcnt lgkmcnt(3)
	v_mov_b32_e32 v7, v25
.LBB0_17:
	s_or_b64 exec, exec, s[2:3]
	v_lshrrev_b16_e32 v10, 1, v35
	v_mul_u32_u24_e32 v10, 0x147b, v10
	v_lshrrev_b32_e32 v10, 17, v10
	v_mul_lo_u16_e32 v10, 50, v10
	v_sub_u16_e32 v60, v35, v10
	v_mul_u32_u24_e32 v10, 6, v60
	v_lshlrev_b32_e32 v61, 3, v10
	v_mov_b32_e32 v10, 41
	v_mul_lo_u16_sdwa v41, v34, v10 dst_sel:DWORD dst_unused:UNUSED_PAD src0_sel:BYTE_0 src1_sel:DWORD
	v_lshrrev_b16_e32 v62, 11, v41
	v_mul_lo_u16_e32 v41, 50, v62
	v_mov_b32_e32 v25, 6
	v_sub_u16_e32 v63, v34, v41
	v_mul_u32_u24_sdwa v25, v63, v25 dst_sel:DWORD dst_unused:UNUSED_PAD src0_sel:BYTE_0 src1_sel:DWORD
	global_load_dwordx4 v[44:47], v61, s[4:5] offset:400
	v_lshlrev_b32_e32 v43, 3, v25
	global_load_dwordx4 v[48:51], v43, s[4:5] offset:416
	global_load_dwordx4 v[52:55], v43, s[4:5] offset:400
	;; [unrolled: 1-line block ×3, first 2 shown]
	s_mov_b32 s6, 0xbf5ff5aa
	s_mov_b32 s7, 0x3f3bfb3b
	;; [unrolled: 1-line block ×4, first 2 shown]
	s_waitcnt vmcnt(3) lgkmcnt(2)
	v_mul_f32_e32 v25, v32, v45
	v_mul_f32_e32 v45, v22, v45
	;; [unrolled: 1-line block ×4, first 2 shown]
	v_fmac_f32_e32 v25, v22, v44
	s_waitcnt vmcnt(2) lgkmcnt(0)
	v_mul_f32_e32 v43, v42, v51
	v_mul_f32_e32 v22, v40, v51
	v_fmac_f32_e32 v41, v23, v46
	v_fma_f32 v23, v33, v46, -v47
	v_mul_f32_e32 v33, v31, v49
	v_fmac_f32_e32 v43, v40, v50
	v_fma_f32 v40, v42, v50, -v22
	;; [unrolled: 3-line block ×3, first 2 shown]
	s_waitcnt vmcnt(1)
	v_mul_f32_e32 v31, v30, v55
	v_mul_f32_e32 v21, v20, v55
	v_fma_f32 v32, v32, v44, -v45
	v_fmac_f32_e32 v31, v20, v54
	global_load_dwordx4 v[46:49], v61, s[4:5] offset:384
	v_fma_f32 v44, v30, v54, -v21
	v_mul_f32_e32 v30, v29, v53
	v_mul_f32_e32 v20, v17, v53
	v_fmac_f32_e32 v30, v17, v52
	v_fma_f32 v29, v29, v52, -v20
	global_load_dwordx4 v[50:53], v61, s[4:5] offset:416
	v_sub_u32_e32 v22, 0, v36
	s_waitcnt vmcnt(2)
	v_mul_f32_e32 v36, v28, v59
	v_fmac_f32_e32 v36, v16, v58
	v_mul_f32_e32 v17, v16, v59
	v_mul_f32_e32 v16, v15, v57
	;; [unrolled: 1-line block ×3, first 2 shown]
	v_sub_u32_e32 v20, 0, v37
	v_fma_f32 v37, v28, v58, -v17
	v_fmac_f32_e32 v16, v13, v56
	v_fma_f32 v13, v15, v56, -v21
	s_barrier
	s_waitcnt vmcnt(1)
	v_mul_f32_e32 v28, v9, v47
	v_mul_f32_e32 v15, v7, v49
	;; [unrolled: 1-line block ×4, first 2 shown]
	v_fma_f32 v24, v24, v46, -v28
	v_fmac_f32_e32 v15, v11, v48
	s_waitcnt vmcnt(0)
	v_mul_f32_e32 v47, v18, v51
	v_mul_f32_e32 v28, v27, v53
	;; [unrolled: 1-line block ×4, first 2 shown]
	v_fmac_f32_e32 v17, v9, v46
	v_fma_f32 v9, v26, v50, -v47
	v_fmac_f32_e32 v28, v19, v52
	v_fma_f32 v19, v27, v52, -v11
	v_add_f32_e32 v11, v16, v43
	v_add_f32_e32 v26, v36, v33
	v_fma_f32 v7, v7, v48, -v45
	v_sub_f32_e32 v27, v37, v42
	v_add_f32_e32 v45, v30, v31
	v_sub_f32_e32 v46, v44, v29
	v_add_f32_e32 v47, v26, v11
	v_fmac_f32_e32 v21, v18, v50
	v_sub_f32_e32 v18, v13, v40
	v_sub_f32_e32 v48, v26, v11
	;; [unrolled: 1-line block ×4, first 2 shown]
	v_add_f32_e32 v49, v46, v27
	v_sub_f32_e32 v50, v46, v27
	v_add_f32_e32 v45, v45, v47
	v_sub_f32_e32 v46, v18, v46
	v_sub_f32_e32 v27, v27, v18
	v_add_f32_e32 v18, v49, v18
	v_mul_f32_e32 v11, 0x3f4a47b2, v11
	v_mul_f32_e32 v47, 0x3d64c772, v26
	;; [unrolled: 1-line block ×3, first 2 shown]
	v_add_f32_e32 v12, v12, v45
	v_mul_f32_e32 v50, 0xbf5ff5aa, v27
	v_fmamk_f32 v45, v45, 0xbf955555, v12
	v_fma_f32 v47, v48, s7, -v47
	v_fma_f32 v48, v48, s10, -v11
	v_fmac_f32_e32 v11, 0x3d64c772, v26
	v_fma_f32 v26, v27, s6, -v49
	v_fmac_f32_e32 v49, 0xbeae86e6, v46
	v_fma_f32 v27, v46, s11, -v50
	v_add_f32_e32 v46, v47, v45
	v_fmac_f32_e32 v26, 0xbee1c552, v18
	v_add_f32_e32 v11, v11, v45
	v_add_f32_e32 v45, v48, v45
	v_fmac_f32_e32 v27, 0xbee1c552, v18
	v_sub_f32_e32 v48, v46, v26
	v_add_f32_e32 v26, v26, v46
	v_mov_b32_e32 v46, 2
	v_fmac_f32_e32 v49, 0xbee1c552, v18
	v_add_f32_e32 v47, v27, v45
	v_sub_f32_e32 v27, v45, v27
	v_mul_u32_u24_e32 v45, 0x578, v62
	v_lshlrev_b32_sdwa v46, v46, v63 dst_sel:DWORD dst_unused:UNUSED_PAD src0_sel:DWORD src1_sel:BYTE_0
	v_add_f32_e32 v18, v49, v11
	v_add3_u32 v45, 0, v45, v46
	v_sub_f32_e32 v11, v11, v49
	ds_write2_b32 v45, v12, v18 offset1:50
	ds_write2_b32 v45, v47, v48 offset0:100 offset1:150
	ds_write2_b32 v45, v26, v27 offset0:200 offset1:250
	ds_write_b32 v45, v11 offset:1200
	v_lshlrev_b32_e32 v26, 2, v60
	s_and_saveexec_b64 s[2:3], s[0:1]
	s_cbranch_execz .LBB0_19
; %bb.18:
	v_add_f32_e32 v11, v17, v28
	v_add_f32_e32 v27, v15, v21
	;; [unrolled: 1-line block ×4, first 2 shown]
	v_sub_f32_e32 v49, v23, v32
	v_sub_f32_e32 v51, v7, v9
	;; [unrolled: 1-line block ×4, first 2 shown]
	v_add_f32_e32 v12, v12, v48
	v_sub_f32_e32 v48, v24, v19
	v_sub_f32_e32 v52, v49, v51
	v_mul_f32_e32 v18, 0x3f4a47b2, v18
	v_mul_f32_e32 v47, 0x3d64c772, v46
	v_add_f32_e32 v8, v8, v12
	v_sub_f32_e32 v50, v48, v49
	v_mul_f32_e32 v52, 0x3f08b237, v52
	v_add_f32_e32 v49, v49, v51
	v_sub_f32_e32 v11, v27, v11
	v_sub_f32_e32 v27, v51, v48
	v_mul_lo_u16_sdwa v10, v35, v10 dst_sel:DWORD dst_unused:UNUSED_PAD src0_sel:BYTE_0 src1_sel:DWORD
	v_fmamk_f32 v46, v46, 0x3d64c772, v18
	v_fmamk_f32 v12, v12, 0xbf955555, v8
	;; [unrolled: 1-line block ×3, first 2 shown]
	v_add_f32_e32 v49, v49, v48
	v_fma_f32 v18, v11, s10, -v18
	v_mul_f32_e32 v48, 0xbf5ff5aa, v27
	v_fma_f32 v27, v27, s6, -v52
	v_fma_f32 v11, v11, s7, -v47
	v_lshrrev_b16_e32 v10, 11, v10
	v_add_f32_e32 v46, v46, v12
	v_fmac_f32_e32 v53, 0xbee1c552, v49
	v_fma_f32 v48, v50, s11, -v48
	v_fmac_f32_e32 v27, 0xbee1c552, v49
	v_add_f32_e32 v11, v11, v12
	v_mul_u32_u24_e32 v10, 0x578, v10
	v_add_f32_e32 v18, v18, v12
	v_fmac_f32_e32 v48, 0xbee1c552, v49
	v_add_f32_e32 v12, v27, v11
	v_sub_f32_e32 v11, v11, v27
	v_add_f32_e32 v27, v53, v46
	v_add3_u32 v10, 0, v10, v26
	v_sub_f32_e32 v54, v46, v53
	v_sub_f32_e32 v50, v18, v48
	v_add_f32_e32 v18, v48, v18
	ds_write2_b32 v10, v8, v27 offset1:50
	ds_write2_b32 v10, v18, v11 offset0:100 offset1:150
	ds_write2_b32 v10, v12, v50 offset0:200 offset1:250
	ds_write_b32 v10, v54 offset:1200
.LBB0_19:
	s_or_b64 exec, exec, s[2:3]
	v_add_f32_e32 v8, v13, v40
	v_add_f32_e32 v11, v37, v42
	v_sub_f32_e32 v10, v16, v43
	v_sub_f32_e32 v12, v36, v33
	v_add_f32_e32 v13, v29, v44
	v_sub_f32_e32 v16, v31, v30
	v_add_f32_e32 v18, v11, v8
	v_sub_f32_e32 v27, v11, v8
	v_sub_f32_e32 v8, v8, v13
	;; [unrolled: 1-line block ×3, first 2 shown]
	v_add_f32_e32 v29, v16, v12
	v_sub_f32_e32 v30, v16, v12
	v_sub_f32_e32 v12, v12, v10
	v_add_f32_e32 v13, v13, v18
	v_sub_f32_e32 v16, v10, v16
	v_add_f32_e32 v10, v29, v10
	v_add_f32_e32 v31, v14, v13
	v_mul_f32_e32 v8, 0x3f4a47b2, v8
	v_mul_f32_e32 v14, 0x3d64c772, v11
	;; [unrolled: 1-line block ×4, first 2 shown]
	v_fmamk_f32 v13, v13, 0xbf955555, v31
	v_fma_f32 v14, v27, s7, -v14
	v_fma_f32 v27, v27, s10, -v8
	v_fmac_f32_e32 v8, 0x3d64c772, v11
	v_fma_f32 v11, v12, s6, -v18
	v_fma_f32 v12, v16, s11, -v29
	v_fmac_f32_e32 v18, 0xbeae86e6, v16
	v_add_f32_e32 v8, v8, v13
	v_add_f32_e32 v14, v14, v13
	;; [unrolled: 1-line block ×3, first 2 shown]
	v_fmac_f32_e32 v12, 0xbee1c552, v10
	v_add_u32_e32 v27, v3, v22
	v_add_u32_e32 v3, 0xd00, v38
	v_fmac_f32_e32 v18, 0xbee1c552, v10
	v_fmac_f32_e32 v11, 0xbee1c552, v10
	v_sub_f32_e32 v33, v13, v12
	v_add_f32_e32 v40, v12, v13
	s_waitcnt lgkmcnt(0)
	s_barrier
	v_add_u32_e32 v29, v5, v20
	ds_read_b32 v22, v27
	ds_read_b32 v20, v29
	ds_read2_b32 v[12:13], v3 offset0:43 offset1:218
	v_add_u32_e32 v3, 0x1200, v38
	v_sub_f32_e32 v30, v8, v18
	v_add_f32_e32 v36, v11, v14
	v_sub_f32_e32 v37, v14, v11
	v_add_f32_e32 v42, v18, v8
	ds_read2_b32 v[10:11], v3 offset0:73 offset1:248
	ds_read_b32 v16, v38 offset:2100
	ds_read_b32 v14, v38 offset:6300
	ds_read_b32 v18, v38
	ds_read_b32 v8, v39
	s_waitcnt lgkmcnt(0)
	s_barrier
	ds_write2_b32 v45, v31, v30 offset1:50
	ds_write2_b32 v45, v33, v36 offset0:100 offset1:150
	ds_write2_b32 v45, v37, v40 offset0:200 offset1:250
	ds_write_b32 v45, v42 offset:1200
	s_and_saveexec_b64 s[2:3], s[0:1]
	s_cbranch_execz .LBB0_21
; %bb.20:
	v_add_f32_e32 v3, v24, v19
	v_add_f32_e32 v7, v7, v9
	v_sub_f32_e32 v9, v15, v21
	v_add_f32_e32 v15, v32, v23
	v_sub_f32_e32 v5, v17, v28
	v_sub_f32_e32 v17, v41, v25
	v_add_f32_e32 v19, v7, v3
	v_sub_f32_e32 v21, v7, v3
	v_sub_f32_e32 v7, v15, v7
	;; [unrolled: 1-line block ×3, first 2 shown]
	v_add_f32_e32 v23, v17, v9
	v_sub_f32_e32 v24, v17, v9
	v_add_f32_e32 v15, v15, v19
	v_mul_f32_e32 v19, 0x3d64c772, v7
	s_mov_b32 s1, 0x3f3bfb3b
	v_sub_f32_e32 v17, v5, v17
	v_sub_f32_e32 v9, v9, v5
	v_add_f32_e32 v5, v23, v5
	v_add_f32_e32 v6, v6, v15
	v_mul_f32_e32 v3, 0x3f4a47b2, v3
	v_mul_f32_e32 v23, 0x3f08b237, v24
	s_mov_b32 s0, 0xbf5ff5aa
	v_fma_f32 v19, v21, s1, -v19
	s_mov_b32 s1, 0xbf3bfb3b
	v_mul_f32_e32 v24, 0xbf5ff5aa, v9
	v_fmamk_f32 v15, v15, 0xbf955555, v6
	v_fma_f32 v21, v21, s1, -v3
	v_fmac_f32_e32 v3, 0x3d64c772, v7
	v_fmamk_f32 v7, v17, 0xbeae86e6, v23
	v_fma_f32 v9, v9, s0, -v23
	s_mov_b32 s0, 0x3eae86e6
	v_fma_f32 v17, v17, s0, -v24
	v_add_f32_e32 v3, v3, v15
	v_fmac_f32_e32 v7, 0xbee1c552, v5
	v_fmac_f32_e32 v9, 0xbee1c552, v5
	v_fmac_f32_e32 v17, 0xbee1c552, v5
	v_sub_f32_e32 v5, v3, v7
	v_add_f32_e32 v3, v7, v3
	v_mov_b32_e32 v7, 41
	v_mul_lo_u16_sdwa v7, v35, v7 dst_sel:DWORD dst_unused:UNUSED_PAD src0_sel:BYTE_0 src1_sel:DWORD
	v_lshrrev_b16_e32 v7, 11, v7
	v_mul_u32_u24_e32 v7, 0x578, v7
	v_add_f32_e32 v19, v19, v15
	v_add_f32_e32 v15, v21, v15
	v_add3_u32 v7, 0, v7, v26
	v_sub_f32_e32 v21, v15, v17
	v_add_f32_e32 v23, v9, v19
	v_sub_f32_e32 v9, v19, v9
	v_add_f32_e32 v15, v17, v15
	ds_write2_b32 v7, v6, v5 offset1:50
	ds_write2_b32 v7, v21, v23 offset0:100 offset1:150
	ds_write2_b32 v7, v9, v15 offset0:200 offset1:250
	ds_write_b32 v7, v3 offset:1200
.LBB0_21:
	s_or_b64 exec, exec, s[2:3]
	s_waitcnt lgkmcnt(0)
	s_barrier
	s_and_saveexec_b64 s[0:1], vcc
	s_cbranch_execz .LBB0_23
; %bb.22:
	v_mov_b32_e32 v3, 0
	v_mov_b32_e32 v5, v3
	v_lshl_add_u64 v[4:5], v[4:5], 3, s[4:5]
	global_load_dwordx4 v[30:33], v[4:5], off offset:2784
	global_load_dwordx4 v[40:43], v[4:5], off offset:2800
	v_mad_u64_u32 v[46:47], s[0:1], s8, v34, 0
	v_add_u32_e32 v15, 0x15e, v34
	v_add_u32_e32 v17, 0x2bc, v34
	;; [unrolled: 1-line block ×3, first 2 shown]
	v_mov_b32_e32 v24, v47
	v_lshl_add_u64 v[2:3], v[2:3], 3, s[4:5]
	v_mad_u64_u32 v[60:61], s[4:5], s8, v15, 0
	v_mad_u64_u32 v[62:63], s[4:5], s8, v17, 0
	;; [unrolled: 1-line block ×4, first 2 shown]
	v_mov_b32_e32 v26, v61
	v_mov_b32_e32 v47, v24
	;; [unrolled: 1-line block ×4, first 2 shown]
	v_add_u32_e32 v5, 0xd00, v38
	ds_read_b32 v4, v38 offset:6300
	ds_read_b32 v9, v39
	ds_read_b32 v28, v27
	;; [unrolled: 1-line block ×3, first 2 shown]
	ds_read_b32 v6, v38 offset:2100
	ds_read_b32 v19, v38
	v_mad_u64_u32 v[26:27], s[4:5], s9, v15, v[26:27]
	v_mad_u64_u32 v[24:25], s[4:5], s9, v17, v[24:25]
	;; [unrolled: 1-line block ×3, first 2 shown]
	v_add_u32_e32 v7, 0x1200, v38
	ds_read2_b32 v[56:57], v5 offset0:43 offset1:218
	ds_read2_b32 v[58:59], v7 offset0:73 offset1:248
	v_mov_b32_e32 v61, v26
	v_mov_b32_e32 v63, v24
	;; [unrolled: 1-line block ×3, first 2 shown]
	global_load_dwordx4 v[24:27], v[2:3], off offset:2800
	global_load_dwordx4 v[36:39], v[2:3], off offset:2784
	v_add_u32_e32 v23, 0x578, v34
	v_mad_u64_u32 v[66:67], s[4:5], s8, v23, 0
	v_mov_b32_e32 v68, v67
	v_mad_u64_u32 v[2:3], s[4:5], s9, v23, v[68:69]
	v_mov_b32_e32 v67, v2
	v_lshl_add_u64 v[2:3], v[60:61], 3, v[0:1]
	v_lshl_add_u64 v[60:61], v[62:63], 3, v[0:1]
	;; [unrolled: 1-line block ×4, first 2 shown]
	v_mov_b32_e32 v48, v11
	v_mov_b32_e32 v50, v11
	;; [unrolled: 1-line block ×4, first 2 shown]
	s_mov_b32 s2, 0x3f737871
	s_mov_b32 s4, 0x3f167918
	s_movk_i32 s1, 0x578
	s_mov_b32 s0, 0x3e9e377a
	v_lshl_add_u64 v[46:47], v[46:47], 3, v[0:1]
	s_waitcnt vmcnt(3) lgkmcnt(5)
	v_pk_mul_f32 v[28:29], v[28:29], v[30:31] op_sel_hi:[0,1]
	s_waitcnt lgkmcnt(4)
	v_pk_mul_f32 v[44:45], v[44:45], v[32:33] op_sel_hi:[0,1]
	v_pk_fma_f32 v[66:67], v[22:23], v[30:31], v[28:29] op_sel:[0,0,1] op_sel_hi:[1,1,0]
	v_pk_fma_f32 v[22:23], v[22:23], v[30:31], v[28:29] op_sel:[0,0,1] op_sel_hi:[0,1,0] neg_lo:[1,0,0] neg_hi:[1,0,0]
	v_pk_fma_f32 v[28:29], v[20:21], v[32:33], v[44:45] op_sel:[0,0,1] op_sel_hi:[1,1,0]
	v_pk_fma_f32 v[20:21], v[20:21], v[32:33], v[44:45] op_sel:[0,0,1] op_sel_hi:[0,1,0] neg_lo:[1,0,0] neg_hi:[1,0,0]
	s_waitcnt lgkmcnt(0)
	v_mov_b32_e32 v20, v59
	v_mov_b32_e32 v22, v57
	s_waitcnt vmcnt(2)
	v_pk_mul_f32 v[30:31], v[20:21], v[42:43] op_sel_hi:[0,1]
	v_pk_mul_f32 v[32:33], v[22:23], v[40:41] op_sel_hi:[0,1]
	v_pk_fma_f32 v[44:45], v[48:49], v[42:43], v[30:31] op_sel:[0,0,1] op_sel_hi:[1,1,0]
	v_pk_fma_f32 v[30:31], v[50:51], v[42:43], v[30:31] op_sel:[0,0,1] op_sel_hi:[0,1,0] neg_lo:[1,0,0] neg_hi:[1,0,0]
	v_pk_fma_f32 v[42:43], v[52:53], v[40:41], v[32:33] op_sel:[0,0,1] op_sel_hi:[1,1,0]
	v_pk_fma_f32 v[32:33], v[54:55], v[40:41], v[32:33] op_sel:[0,0,1] op_sel_hi:[0,1,0] neg_lo:[1,0,0] neg_hi:[1,0,0]
	v_mov_b32_e32 v67, v23
	v_mov_b32_e32 v45, v31
	v_mov_b32_e32 v29, v21
	v_mov_b32_e32 v43, v33
	v_pk_add_f32 v[20:21], v[66:67], v[28:29] neg_lo:[0,1] neg_hi:[0,1]
	v_pk_add_f32 v[22:23], v[44:45], v[42:43] neg_lo:[0,1] neg_hi:[0,1]
	v_pk_add_f32 v[30:31], v[28:29], v[42:43]
	v_pk_add_f32 v[32:33], v[66:67], v[44:45] neg_lo:[0,1] neg_hi:[0,1]
	v_pk_add_f32 v[20:21], v[20:21], v[22:23]
	v_pk_fma_f32 v[22:23], v[30:31], 0.5, v[18:19] op_sel_hi:[1,0,1] neg_lo:[1,0,0] neg_hi:[1,0,0]
	v_pk_add_f32 v[40:41], v[28:29], v[42:43] neg_lo:[0,1] neg_hi:[0,1]
	v_pk_fma_f32 v[30:31], v[32:33], s[2:3], v[22:23] op_sel:[1,0,0] op_sel_hi:[0,0,1]
	v_pk_fma_f32 v[22:23], v[32:33], s[2:3], v[22:23] op_sel:[1,0,0] op_sel_hi:[0,0,1] neg_lo:[1,0,0] neg_hi:[1,0,0]
	v_pk_add_f32 v[50:51], v[18:19], v[66:67]
	v_pk_fma_f32 v[22:23], v[40:41], s[4:5], v[22:23] op_sel:[1,0,0] op_sel_hi:[0,0,1] neg_lo:[1,0,0] neg_hi:[1,0,0]
	v_pk_fma_f32 v[30:31], v[40:41], s[4:5], v[30:31] op_sel:[1,0,0] op_sel_hi:[0,0,1]
	v_pk_add_f32 v[50:51], v[50:51], v[28:29]
	v_mov_b32_e32 v48, v30
	v_mov_b32_e32 v49, v23
	v_pk_add_f32 v[50:51], v[50:51], v[42:43]
	v_mov_b32_e32 v23, v31
	v_pk_fma_f32 v[48:49], v[20:21], s[0:1], v[48:49] op_sel_hi:[1,0,1]
	v_pk_add_f32 v[50:51], v[44:45], v[50:51]
	v_pk_fma_f32 v[20:21], v[20:21], s[0:1], v[22:23] op_sel_hi:[1,0,1]
	global_store_dwordx2 v[46:47], v[50:51], off
	global_store_dwordx2 v[2:3], v[20:21], off
	v_pk_add_f32 v[2:3], v[66:67], v[44:45]
	v_pk_add_f32 v[20:21], v[42:43], v[44:45] neg_lo:[0,1] neg_hi:[0,1]
	v_pk_fma_f32 v[2:3], v[2:3], 0.5, v[18:19] op_sel_hi:[1,0,1] neg_lo:[1,0,0] neg_hi:[1,0,0]
	v_pk_add_f32 v[18:19], v[28:29], v[66:67] neg_lo:[0,1] neg_hi:[0,1]
	s_nop 0
	v_pk_add_f32 v[18:19], v[18:19], v[20:21]
	v_pk_fma_f32 v[20:21], v[40:41], s[2:3], v[2:3] op_sel:[1,0,0] op_sel_hi:[0,0,1] neg_lo:[1,0,0] neg_hi:[1,0,0]
	v_pk_fma_f32 v[2:3], v[40:41], s[2:3], v[2:3] op_sel:[1,0,0] op_sel_hi:[0,0,1]
	v_pk_fma_f32 v[2:3], v[32:33], s[4:5], v[2:3] op_sel:[1,0,0] op_sel_hi:[0,0,1] neg_lo:[1,0,0] neg_hi:[1,0,0]
	v_pk_fma_f32 v[20:21], v[32:33], s[4:5], v[20:21] op_sel:[1,0,0] op_sel_hi:[0,0,1]
	v_mov_b32_e32 v23, v3
	v_mov_b32_e32 v3, v21
	;; [unrolled: 1-line block ×3, first 2 shown]
	v_pk_fma_f32 v[2:3], v[18:19], s[0:1], v[2:3] op_sel_hi:[1,0,1]
	v_pk_fma_f32 v[22:23], v[18:19], s[0:1], v[22:23] op_sel_hi:[1,0,1]
	global_store_dwordx2 v[60:61], v[2:3], off
	global_store_dwordx2 v[62:63], v[22:23], off
	;; [unrolled: 1-line block ×3, first 2 shown]
	v_add_u32_e32 v2, 0xaf, v34
	s_mov_b32 s3, 0x5d9f7391
	v_mul_hi_u32 v3, v2, s3
	v_lshrrev_b32_e32 v3, 7, v3
	v_mad_u32_u24 v5, v3, s1, v2
	v_mad_u64_u32 v[2:3], s[6:7], s8, v5, 0
	v_mov_b32_e32 v18, v3
	v_mad_u64_u32 v[18:19], s[6:7], s9, v5, v[18:19]
	v_add_u32_e32 v7, 0x15e, v5
	v_mov_b32_e32 v3, v18
	v_mad_u64_u32 v[18:19], s[6:7], s8, v7, 0
	v_mov_b32_e32 v20, v19
	v_mad_u64_u32 v[20:21], s[6:7], s9, v7, v[20:21]
	v_add_u32_e32 v7, 0x2bc, v5
	v_mov_b32_e32 v19, v20
	;; [unrolled: 5-line block ×4, first 2 shown]
	v_mad_u64_u32 v[28:29], s[6:7], s8, v5, 0
	v_mov_b32_e32 v30, v29
	v_mad_u64_u32 v[30:31], s[6:7], s9, v5, v[30:31]
	v_mov_b32_e32 v29, v30
	s_waitcnt vmcnt(5)
	v_pk_mul_f32 v[6:7], v[6:7], v[36:37] op_sel_hi:[0,1]
	v_lshl_add_u64 v[2:3], v[2:3], 3, v[0:1]
	v_lshl_add_u64 v[18:19], v[18:19], 3, v[0:1]
	v_lshl_add_u64 v[20:21], v[20:21], 3, v[0:1]
	v_lshl_add_u64 v[22:23], v[22:23], 3, v[0:1]
	v_lshl_add_u64 v[0:1], v[28:29], 3, v[0:1]
	v_pk_fma_f32 v[28:29], v[16:17], v[36:37], v[6:7] op_sel:[0,0,1] op_sel_hi:[1,1,0]
	v_pk_fma_f32 v[6:7], v[16:17], v[36:37], v[6:7] op_sel:[0,0,1] op_sel_hi:[0,1,0] neg_lo:[1,0,0] neg_hi:[1,0,0]
	v_pk_mul_f32 v[4:5], v[4:5], v[26:27] op_sel_hi:[0,1]
	v_mov_b32_e32 v29, v7
	v_pk_fma_f32 v[6:7], v[14:15], v[26:27], v[4:5] op_sel:[0,0,1] op_sel_hi:[1,1,0]
	v_pk_fma_f32 v[4:5], v[14:15], v[26:27], v[4:5] op_sel:[0,0,1] op_sel_hi:[0,1,0] neg_lo:[1,0,0] neg_hi:[1,0,0]
	v_mov_b32_e32 v7, v5
	v_pk_mul_f32 v[4:5], v[56:57], v[38:39] op_sel_hi:[0,1]
	v_pk_fma_f32 v[14:15], v[12:13], v[38:39], v[4:5] op_sel:[0,0,1] op_sel_hi:[1,1,0]
	v_pk_fma_f32 v[4:5], v[12:13], v[38:39], v[4:5] op_sel:[0,0,1] op_sel_hi:[0,1,0] neg_lo:[1,0,0] neg_hi:[1,0,0]
	v_mov_b32_e32 v15, v5
	v_pk_mul_f32 v[4:5], v[58:59], v[24:25] op_sel_hi:[0,1]
	v_pk_fma_f32 v[12:13], v[10:11], v[24:25], v[4:5] op_sel:[0,0,1] op_sel_hi:[1,1,0]
	v_pk_fma_f32 v[4:5], v[10:11], v[24:25], v[4:5] op_sel:[0,0,1] op_sel_hi:[0,1,0] neg_lo:[1,0,0] neg_hi:[1,0,0]
	v_mov_b32_e32 v13, v5
	v_pk_add_f32 v[4:5], v[28:29], v[14:15] neg_lo:[0,1] neg_hi:[0,1]
	v_pk_add_f32 v[10:11], v[6:7], v[12:13] neg_lo:[0,1] neg_hi:[0,1]
	;; [unrolled: 1-line block ×3, first 2 shown]
	v_pk_add_f32 v[4:5], v[4:5], v[10:11]
	v_pk_add_f32 v[10:11], v[14:15], v[12:13]
	;; [unrolled: 1-line block ×3, first 2 shown]
	v_pk_fma_f32 v[10:11], v[10:11], 0.5, v[8:9] op_sel_hi:[1,0,1] neg_lo:[1,0,0] neg_hi:[1,0,0]
	v_pk_add_f32 v[26:27], v[14:15], v[12:13] neg_lo:[0,1] neg_hi:[0,1]
	v_pk_fma_f32 v[24:25], v[16:17], s[2:3], v[10:11] op_sel:[1,0,0] op_sel_hi:[0,0,1]
	v_pk_fma_f32 v[10:11], v[16:17], s[2:3], v[10:11] op_sel:[1,0,0] op_sel_hi:[0,0,1] neg_lo:[1,0,0] neg_hi:[1,0,0]
	v_pk_add_f32 v[32:33], v[32:33], v[14:15]
	v_pk_fma_f32 v[10:11], v[26:27], s[4:5], v[10:11] op_sel:[1,0,0] op_sel_hi:[0,0,1] neg_lo:[1,0,0] neg_hi:[1,0,0]
	v_pk_fma_f32 v[24:25], v[26:27], s[4:5], v[24:25] op_sel:[1,0,0] op_sel_hi:[0,0,1]
	v_pk_add_f32 v[32:33], v[32:33], v[12:13]
	v_mov_b32_e32 v31, v11
	v_pk_add_f32 v[32:33], v[6:7], v[32:33]
	v_mov_b32_e32 v11, v25
	v_mov_b32_e32 v30, v24
	global_store_dwordx2 v[2:3], v[32:33], off
	v_pk_fma_f32 v[2:3], v[4:5], s[0:1], v[10:11] op_sel_hi:[1,0,1]
	v_pk_fma_f32 v[30:31], v[4:5], s[0:1], v[30:31] op_sel_hi:[1,0,1]
	global_store_dwordx2 v[18:19], v[2:3], off
	v_pk_add_f32 v[2:3], v[14:15], v[28:29] neg_lo:[0,1] neg_hi:[0,1]
	v_pk_add_f32 v[4:5], v[12:13], v[6:7] neg_lo:[0,1] neg_hi:[0,1]
	s_nop 0
	v_pk_add_f32 v[2:3], v[2:3], v[4:5]
	v_pk_add_f32 v[4:5], v[28:29], v[6:7]
	s_nop 0
	v_pk_fma_f32 v[4:5], v[4:5], 0.5, v[8:9] op_sel_hi:[1,0,1] neg_lo:[1,0,0] neg_hi:[1,0,0]
	s_nop 0
	v_pk_fma_f32 v[6:7], v[26:27], s[2:3], v[4:5] op_sel:[1,0,0] op_sel_hi:[0,0,1] neg_lo:[1,0,0] neg_hi:[1,0,0]
	v_pk_fma_f32 v[4:5], v[26:27], s[2:3], v[4:5] op_sel:[1,0,0] op_sel_hi:[0,0,1]
	v_pk_fma_f32 v[4:5], v[16:17], s[4:5], v[4:5] op_sel:[1,0,0] op_sel_hi:[0,0,1] neg_lo:[1,0,0] neg_hi:[1,0,0]
	v_pk_fma_f32 v[6:7], v[16:17], s[4:5], v[6:7] op_sel:[1,0,0] op_sel_hi:[0,0,1]
	v_mov_b32_e32 v8, v6
	v_mov_b32_e32 v9, v5
	;; [unrolled: 1-line block ×3, first 2 shown]
	v_pk_fma_f32 v[8:9], v[2:3], s[0:1], v[8:9] op_sel_hi:[1,0,1]
	v_pk_fma_f32 v[2:3], v[2:3], s[0:1], v[4:5] op_sel_hi:[1,0,1]
	global_store_dwordx2 v[20:21], v[2:3], off
	global_store_dwordx2 v[22:23], v[8:9], off
	;; [unrolled: 1-line block ×3, first 2 shown]
.LBB0_23:
	s_endpgm
	.section	.rodata,"a",@progbits
	.p2align	6, 0x0
	.amdhsa_kernel fft_rtc_back_len1750_factors_2_5_5_7_5_wgs_175_tpt_175_halfLds_sp_ip_CI_sbrr_dirReg
		.amdhsa_group_segment_fixed_size 0
		.amdhsa_private_segment_fixed_size 0
		.amdhsa_kernarg_size 88
		.amdhsa_user_sgpr_count 2
		.amdhsa_user_sgpr_dispatch_ptr 0
		.amdhsa_user_sgpr_queue_ptr 0
		.amdhsa_user_sgpr_kernarg_segment_ptr 1
		.amdhsa_user_sgpr_dispatch_id 0
		.amdhsa_user_sgpr_kernarg_preload_length 0
		.amdhsa_user_sgpr_kernarg_preload_offset 0
		.amdhsa_user_sgpr_private_segment_size 0
		.amdhsa_uses_dynamic_stack 0
		.amdhsa_enable_private_segment 0
		.amdhsa_system_sgpr_workgroup_id_x 1
		.amdhsa_system_sgpr_workgroup_id_y 0
		.amdhsa_system_sgpr_workgroup_id_z 0
		.amdhsa_system_sgpr_workgroup_info 0
		.amdhsa_system_vgpr_workitem_id 0
		.amdhsa_next_free_vgpr 70
		.amdhsa_next_free_sgpr 24
		.amdhsa_accum_offset 72
		.amdhsa_reserve_vcc 1
		.amdhsa_float_round_mode_32 0
		.amdhsa_float_round_mode_16_64 0
		.amdhsa_float_denorm_mode_32 3
		.amdhsa_float_denorm_mode_16_64 3
		.amdhsa_dx10_clamp 1
		.amdhsa_ieee_mode 1
		.amdhsa_fp16_overflow 0
		.amdhsa_tg_split 0
		.amdhsa_exception_fp_ieee_invalid_op 0
		.amdhsa_exception_fp_denorm_src 0
		.amdhsa_exception_fp_ieee_div_zero 0
		.amdhsa_exception_fp_ieee_overflow 0
		.amdhsa_exception_fp_ieee_underflow 0
		.amdhsa_exception_fp_ieee_inexact 0
		.amdhsa_exception_int_div_zero 0
	.end_amdhsa_kernel
	.text
.Lfunc_end0:
	.size	fft_rtc_back_len1750_factors_2_5_5_7_5_wgs_175_tpt_175_halfLds_sp_ip_CI_sbrr_dirReg, .Lfunc_end0-fft_rtc_back_len1750_factors_2_5_5_7_5_wgs_175_tpt_175_halfLds_sp_ip_CI_sbrr_dirReg
                                        ; -- End function
	.section	.AMDGPU.csdata,"",@progbits
; Kernel info:
; codeLenInByte = 7968
; NumSgprs: 30
; NumVgprs: 70
; NumAgprs: 0
; TotalNumVgprs: 70
; ScratchSize: 0
; MemoryBound: 0
; FloatMode: 240
; IeeeMode: 1
; LDSByteSize: 0 bytes/workgroup (compile time only)
; SGPRBlocks: 3
; VGPRBlocks: 8
; NumSGPRsForWavesPerEU: 30
; NumVGPRsForWavesPerEU: 70
; AccumOffset: 72
; Occupancy: 7
; WaveLimiterHint : 1
; COMPUTE_PGM_RSRC2:SCRATCH_EN: 0
; COMPUTE_PGM_RSRC2:USER_SGPR: 2
; COMPUTE_PGM_RSRC2:TRAP_HANDLER: 0
; COMPUTE_PGM_RSRC2:TGID_X_EN: 1
; COMPUTE_PGM_RSRC2:TGID_Y_EN: 0
; COMPUTE_PGM_RSRC2:TGID_Z_EN: 0
; COMPUTE_PGM_RSRC2:TIDIG_COMP_CNT: 0
; COMPUTE_PGM_RSRC3_GFX90A:ACCUM_OFFSET: 17
; COMPUTE_PGM_RSRC3_GFX90A:TG_SPLIT: 0
	.text
	.p2alignl 6, 3212836864
	.fill 256, 4, 3212836864
	.type	__hip_cuid_3d8f637d4bf9f0c,@object ; @__hip_cuid_3d8f637d4bf9f0c
	.section	.bss,"aw",@nobits
	.globl	__hip_cuid_3d8f637d4bf9f0c
__hip_cuid_3d8f637d4bf9f0c:
	.byte	0                               ; 0x0
	.size	__hip_cuid_3d8f637d4bf9f0c, 1

	.ident	"AMD clang version 19.0.0git (https://github.com/RadeonOpenCompute/llvm-project roc-6.4.0 25133 c7fe45cf4b819c5991fe208aaa96edf142730f1d)"
	.section	".note.GNU-stack","",@progbits
	.addrsig
	.addrsig_sym __hip_cuid_3d8f637d4bf9f0c
	.amdgpu_metadata
---
amdhsa.kernels:
  - .agpr_count:     0
    .args:
      - .actual_access:  read_only
        .address_space:  global
        .offset:         0
        .size:           8
        .value_kind:     global_buffer
      - .offset:         8
        .size:           8
        .value_kind:     by_value
      - .actual_access:  read_only
        .address_space:  global
        .offset:         16
        .size:           8
        .value_kind:     global_buffer
      - .actual_access:  read_only
        .address_space:  global
        .offset:         24
        .size:           8
        .value_kind:     global_buffer
      - .offset:         32
        .size:           8
        .value_kind:     by_value
      - .actual_access:  read_only
        .address_space:  global
        .offset:         40
        .size:           8
        .value_kind:     global_buffer
      - .actual_access:  read_only
        .address_space:  global
        .offset:         48
        .size:           8
        .value_kind:     global_buffer
      - .offset:         56
        .size:           4
        .value_kind:     by_value
      - .actual_access:  read_only
        .address_space:  global
        .offset:         64
        .size:           8
        .value_kind:     global_buffer
      - .actual_access:  read_only
        .address_space:  global
        .offset:         72
        .size:           8
        .value_kind:     global_buffer
      - .address_space:  global
        .offset:         80
        .size:           8
        .value_kind:     global_buffer
    .group_segment_fixed_size: 0
    .kernarg_segment_align: 8
    .kernarg_segment_size: 88
    .language:       OpenCL C
    .language_version:
      - 2
      - 0
    .max_flat_workgroup_size: 175
    .name:           fft_rtc_back_len1750_factors_2_5_5_7_5_wgs_175_tpt_175_halfLds_sp_ip_CI_sbrr_dirReg
    .private_segment_fixed_size: 0
    .sgpr_count:     30
    .sgpr_spill_count: 0
    .symbol:         fft_rtc_back_len1750_factors_2_5_5_7_5_wgs_175_tpt_175_halfLds_sp_ip_CI_sbrr_dirReg.kd
    .uniform_work_group_size: 1
    .uses_dynamic_stack: false
    .vgpr_count:     70
    .vgpr_spill_count: 0
    .wavefront_size: 64
amdhsa.target:   amdgcn-amd-amdhsa--gfx950
amdhsa.version:
  - 1
  - 2
...

	.end_amdgpu_metadata
